;; amdgpu-corpus repo=ROCm/hipBLASLt kind=harvested arch=n/a opt=n/a

/******************************************/
/* Begin Kernel                           */
/******************************************/
.amdgcn_target "amdgcn-amd-amdhsa--gfx942"
.text
.protected Custom_Cijk_Ailk_Bljk_F8NH_HHS_BH_Bias_AS_SAB_SAV_shortname1_gfx942
.globl Custom_Cijk_Ailk_Bljk_F8NH_HHS_BH_Bias_AS_SAB_SAV_shortname1_gfx942
.p2align 8
.type Custom_Cijk_Ailk_Bljk_F8NH_HHS_BH_Bias_AS_SAB_SAV_shortname1_gfx942,@function
.section .rodata,#alloc
.p2align 6
.amdhsa_kernel Custom_Cijk_Ailk_Bljk_F8NH_HHS_BH_Bias_AS_SAB_SAV_shortname1_gfx942
  .amdhsa_user_sgpr_kernarg_segment_ptr 1
  .amdhsa_accum_offset 112 // accvgpr offset
  .amdhsa_next_free_vgpr 128 // vgprs
  .amdhsa_next_free_sgpr 87 // sgprs
  .amdhsa_group_segment_fixed_size 13312 // lds bytes
  .amdhsa_private_segment_fixed_size 0
  .amdhsa_system_sgpr_workgroup_id_x 1
  .amdhsa_system_sgpr_workgroup_id_y 1
  .amdhsa_system_sgpr_workgroup_id_z 1
  .amdhsa_system_vgpr_workitem_id 0
  .amdhsa_float_denorm_mode_32 3
  .amdhsa_float_denorm_mode_16_64 3
.end_amdhsa_kernel
.text
/* Num VGPR   =112 */
/* Num AccVGPR=16 */
/* Num SGPR   =87 */

/******************************************/
/* Optimizations and Config:              */
/******************************************/
/* ThreadTile= 8 x 2 */
/* SubGroup= 16 x 16 */
/* VectorWidthA=2 */
/* VectorWidthB=1 */
/* GlobalReadVectorWidthA=2, GlobalReadVectorWidthB=8 */
/* DirectToLdsA=False */
/* DirectToLdsB=False */
/* UseSgprForGRO=1 */
.amdgpu_metadata
---
custom.config:
   ProblemType:
      OperationType: GEMM
      DataTypeA: f8n
      DataTypeB: h
      UseScaleAB: "Scalar"
      DataType: h
      DestDataType: h
      ComputeDataType: s
      HighPrecisionAccumulate: True
      TransposeA: False
      TransposeB: False
      UseBeta: True
      Batched: True
      UseBias: 1
      Activation: True
      UseScaleAlphaVec: 1
   1LDSBuffer: 1
   DepthU: 64
   StaggerU: 4
   WorkGroupMapping: 1
   GlobalReadVectorWidthA: 2
   GlobalReadVectorWidthB: 8
   AssertFree0ElementMultiple: 2
   GlobalSplitU: 2
   GlobalSplitUAlgorithm: MultipleBuffer
   InternalSupportParams: {KernArgsVersion: 0, SupportCustomWGM: True, SupportUserGSU: True, SupportCustomStaggerU: True, UseUniversalArgs: False}
   PreloadKernArgs: 0
   NoReject: 1
amdhsa.version:
  - 1
  - 1
amdhsa.kernels:
  - .name: Custom_Cijk_Ailk_Bljk_F8NH_HHS_BH_Bias_AS_SAB_SAV_shortname1_gfx942
    .symbol: 'Custom_Cijk_Ailk_Bljk_F8NH_HHS_BH_Bias_AS_SAB_SAV_shortname1_gfx942.kd'
    .language:                   OpenCL C
    .language_version:
      - 2
      - 0
    .args:
      - .name:            SizesFree0
        .size:            4
        .offset:          0
        .value_kind:      by_value
        .value_type:      u32
      - .name:            SizesFree1
        .size:            4
        .offset:          4
        .value_kind:      by_value
        .value_type:      u32
      - .name:            SizesFree2
        .size:            4
        .offset:          8
        .value_kind:      by_value
        .value_type:      u32
      - .name:            SizesSum0
        .size:            4
        .offset:          12
        .value_kind:      by_value
        .value_type:      u32
      - .name:            D
        .size:            8
        .offset:          16
        .value_kind:      global_buffer
        .value_type:      f16
        .address_space:   generic
      - .name:            C
        .size:            8
        .offset:          24
        .value_kind:      global_buffer
        .value_type:      f16
        .address_space:   generic
      - .name:            A
        .size:            8
        .offset:          32
        .value_kind:      global_buffer
        .value_type:      f16
        .address_space:   generic
      - .name:            B
        .size:            8
        .offset:          40
        .value_kind:      global_buffer
        .value_type:      f16
        .address_space:   generic
      - .name:            strideD0
        .size:            4
        .offset:          48
        .value_kind:      by_value
        .value_type:      u32
      - .name:            strideD1
        .size:            4
        .offset:          52
        .value_kind:      by_value
        .value_type:      u32
      - .name:            strideC0
        .size:            4
        .offset:          56
        .value_kind:      by_value
        .value_type:      u32
      - .name:            strideC1
        .size:            4
        .offset:          60
        .value_kind:      by_value
        .value_type:      u32
      - .name:            strideA0
        .size:            4
        .offset:          64
        .value_kind:      by_value
        .value_type:      u32
      - .name:            strideA1
        .size:            4
        .offset:          68
        .value_kind:      by_value
        .value_type:      u32
      - .name:            strideB0
        .size:            4
        .offset:          72
        .value_kind:      by_value
        .value_type:      u32
      - .name:            strideB1
        .size:            4
        .offset:          76
        .value_kind:      by_value
        .value_type:      u32
      - .name:            alpha
        .size:            4
        .offset:          80
        .value_kind:      by_value
        .value_type:      f32
      - .name:            beta
        .size:            4
        .offset:          84
        .value_kind:      by_value
        .value_type:      f32
      - .name:            internalArgs
        .size:            4
        .offset:          88
        .value_kind:      by_value
        .value_type:      u32
      - .name:            AddressScaleA
        .size:            8
        .offset:          92
        .value_kind:      global_buffer
        .value_type:      f32
        .address_space:   generic
      - .name:            AddressScaleB
        .size:            8
        .offset:          100
        .value_kind:      global_buffer
        .value_type:      f32
        .address_space:   generic
      - .name:            AddressScaleAlphaVec
        .size:            8
        .offset:          108
        .value_kind:      global_buffer
        .value_type:      f32
        .address_space:   generic
      - .name:            bias
        .size:            8
        .offset:          116
        .value_kind:      global_buffer
        .value_type:      void
        .address_space:   generic
      - .name:            biasType
        .size:            4
        .offset:          124
        .value_kind:      by_value
        .value_type:      u32
      - .name:            StrideBias
        .size:            4
        .offset:          128
        .value_kind:      by_value
        .value_type:      u32
      - .name:            activationAlpha
        .size:            4
        .offset:          132
        .value_kind:      by_value
        .value_type:      f32
      - .name:            activationBeta
        .size:            4
        .offset:          136
        .value_kind:      by_value
        .value_type:      f32
      - .name:            activationType
        .size:            4
        .offset:          140
        .value_kind:      by_value
        .value_type:      u32
    .group_segment_fixed_size:   13312
    .kernarg_segment_align:      8
    .kernarg_segment_size:       144
    .max_flat_workgroup_size:    256
    .private_segment_fixed_size: 0
    .sgpr_count:                 87
    .sgpr_spill_count:           0
    .vgpr_count:                 112
    .vgpr_spill_count:           0
    .wavefront_size:             64
...
.end_amdgpu_metadata
Custom_Cijk_Ailk_Bljk_F8NH_HHS_BH_Bias_AS_SAB_SAV_shortname1_gfx942:
.long 0xC0120600, 0x00000000
.long 0xC00A0A00, 0x00000040
	;; [unrolled: 1-line block ×7, first 2 shown]
.long 0x7E9C0300
.long 0x26029CBF
	;; [unrolled: 1-line block ×29, first 2 shown]
.long 0xD2850000, 0x00020052
.long 0xD1FE0020, 0x02060300
.long 0x20044087
.long 0x24040485
	;; [unrolled: 1-line block ×12, first 2 shown]
.long 0xD1FE0021, 0x02064305
.long 0x200C4287
.long 0x240C0C85
	;; [unrolled: 1-line block ×4, first 2 shown]
.long 0x8609FF2E, 0x0000FF00
.long 0x8F098809
.long 0x862FFF2E, 0xFFFF0000
.long 0x8F2F902F
.long 0x862EFF2E, 0x000000FF
.long 0x7E1002FF, 0x00000080
.long 0x7E0E0218
.long 0x7E0C0D08
	;; [unrolled: 1-line block ×8, first 2 shown]
.long 0xD0CD006A, 0x00010109
.long 0xD11C6A06, 0x01A90106
.long 0x7E1002A0
.long 0x7E0E0219
	;; [unrolled: 1-line block ×10, first 2 shown]
.long 0xD0CD006A, 0x00010109
.long 0xD11C6A06, 0x01A90106
.long 0xBF800000
.long 0x7E2A0506
	;; [unrolled: 1-line block ×6, first 2 shown]
.long 0xD042006A, 0x0001002C
.long 0xBF860001
.long 0xBE9B0080
	;; [unrolled: 1-line block ×9, first 2 shown]
.long 0xD1080007, 0x00005D06
.long 0x6A0E0E03
.long 0xD0DA007E, 0x00005D07
.long 0x680C0C81
.long 0x7E0E0280
	;; [unrolled: 1-line block ×18, first 2 shown]
.long 0xD1080007, 0x00001306
.long 0x6A0E0E03
.long 0xD0DA007E, 0x00001307
.long 0x680C0C81
.long 0xBEFE01C1
	;; [unrolled: 1-line block ×12, first 2 shown]
.long 0xD1080007, 0x00001306
.long 0x6A0E0E15
.long 0xD0DA007E, 0x00001307
.long 0x680C0C81
.long 0xBEFE01C1
.long 0x7EA40506
.long 0x92535209
.long 0x80D65315
.long 0xBF068056
.long 0xBED60209
.long 0xBF095254
.long 0x85520956
.long 0x7E0C0C52
.long 0x7E0C4706
.long 0x7E0E0C55
.long 0x0A0C0F06
.long 0x7E0C0F06
.long 0xD1080007, 0x0000A506
.long 0x6A0E0E55
.long 0xD0DA007E, 0x0000A507
.long 0x680C0C81
.long 0x7E0E0280
	;; [unrolled: 1-line block ×16, first 2 shown]
.long 0xD2850001, 0x00020288
.long 0xD2850001, 0x00020228
.long 0x68000101
.long 0x20029C86
	;; [unrolled: 1-line block ×21, first 2 shown]
.long 0xD2850006, 0x0002042A
.long 0x32460D03
.long 0x68464688
	;; [unrolled: 1-line block ×3, first 2 shown]
.long 0x9655FF02, 0x00000080
.long 0x9254FF02, 0x00000080
.long 0x965306C0
.long 0x925206C0
	;; [unrolled: 1-line block ×30, first 2 shown]
.long 0xBEB300FF, 0x00020000
.long 0x9655A003
.long 0x9254A003
	;; [unrolled: 1-line block ×34, first 2 shown]
.long 0xBEB700FF, 0x00020000
.long 0x9252C02E
.long 0x923F2852
.long 0x9252FF2E, 0x00000080
.long 0xBEC00052
.long 0x8F0A861B
	;; [unrolled: 1-line block ×9, first 2 shown]
.long 0xD1080001, 0x00005D00
.long 0x6A02020A
.long 0xD0DA007E, 0x00005D01
.long 0x68000081
.long 0x7E020280
	;; [unrolled: 1-line block ×9, first 2 shown]
.long 0x8654FF2F, 0x00001F00
.long 0x8F548854
.long 0x8655FF2F, 0x0000E000
.long 0x862FFF2F, 0x000000FF
.long 0xBED2002F
.long 0x8E535452
	;; [unrolled: 1-line block ×13, first 2 shown]
.long 0xBF06FF55, 0x00002000
.long 0xBF850002
.long 0xBED20003
.long 0xBF820011
.long 0xBF06FF55, 0x00004000
.long 0xBF850002
.long 0xBED200C1
.long 0xBF82000C
	;; [unrolled: 4-line block ×3, first 2 shown]
.long 0x80520252
.long 0xBF820005
.long 0xBF06FF55, 0x00008000
.long 0xBF850002
.long 0xBED200C1
	;; [unrolled: 1-line block ×32, first 2 shown]
.long 0xE05C1000, 0x800D3423
.long 0xE0901000, 0x800C2422
	;; [unrolled: 1-line block ×17, first 2 shown]
.long 0x8054810A
.long 0xBF06543A
	;; [unrolled: 1-line block ×22, first 2 shown]
.long 0xBE8E00FF, 0x80000000
.long 0xBE8F00FF, 0x00020000
.long 0xBE90001E
.long 0xBE91001F
.long 0xBE9200FF, 0x80000000
.long 0xBE9300FF, 0x00020000
.long 0x925403A0
.long 0x96532654
	;; [unrolled: 1-line block ×40, first 2 shown]
.long 0xD3D94000, 0x18000080
.long 0xD3D94001, 0x18000080
	;; [unrolled: 1-line block ×16, first 2 shown]
.long 0xBF06800A
.long 0xBF840006
	;; [unrolled: 1-line block ×3, first 2 shown]
.long 0x815484FF, 0x00001128
.long 0x80525452
.long 0x82538053
	;; [unrolled: 1-line block ×5, first 2 shown]
.long 0xE05C1000, 0x800D4823
.long 0xE0901000, 0x800C3822
	;; [unrolled: 1-line block ×17, first 2 shown]
.long 0xBF8C8F71
.long 0xD9BE0000, 0x00003421
.long 0x2A4242FF, 0x00002000
.long 0xBF8CC07F
.long 0xBF8A0000
.long 0xD9FE0000, 0x10000020
.long 0xD9FE0A00, 0x14000020
.long 0xBF8C4F7D
.long 0x7E98ACF9, 0x00040624
.long 0x7E0014F9, 0x0006144C
	;; [unrolled: 1-line block ×12, first 2 shown]
.long 0xBF820024
.long 0xBF8C4F70
.long 0xD9BE0000, 0x00003421
.long 0x2A4242FF, 0x00002000
.long 0xBF8CC07F
.long 0xBF8A0000
.long 0xD9FE0000, 0x10000020
.long 0xD9FE0A00, 0x14000020
.long 0xBF8C0F7C
.long 0x7E98ACF9, 0x00040624
.long 0x7E0014F9, 0x0006144C
	;; [unrolled: 1-line block ×12, first 2 shown]
.long 0xBF06810A
.long 0xBF850365
.long 0xBF0B820A
.long 0xBF85019C
.long 0xBF8CC07F
.long 0xD3CD8000, 0x04020110
.long 0xD9FE0040, 0x18000020
	;; [unrolled: 1-line block ×4, first 2 shown]
.long 0xBF063A0A
.long 0x8552403D
	;; [unrolled: 1-line block ×9, first 2 shown]
.long 0xE05C1000, 0x800D3423
.long 0xD3CD8008, 0x04220114
.long 0xBF063A0A
.long 0x85523F3B
	;; [unrolled: 1-line block ×9, first 2 shown]
.long 0xE0901000, 0x800C2422
.long 0xD3CD800C, 0x04320514
.long 0xBF8C4F7B
.long 0x7E98ACF9, 0x00040628
.long 0x7E0814F9, 0x0006144C
	;; [unrolled: 1-line block ×15, first 2 shown]
.long 0xBF8C4F79
.long 0x7E98ACF9, 0x0004062C
.long 0x7E1014F9, 0x0006144C
	;; [unrolled: 1-line block ×15, first 2 shown]
.long 0xBF8C4F77
.long 0x7E98ACF9, 0x00040630
.long 0x7E1814F9, 0x0006144C
	;; [unrolled: 1-line block ×5, first 2 shown]
.long 0xBF8C4F77
.long 0xD9BE0000, 0x00004821
.long 0xD3CD800C, 0x04320D16
	;; [unrolled: 1-line block ×4, first 2 shown]
.long 0xBF8CC17F
.long 0xD3CD8000, 0x04021118
.long 0x7E98ACF9, 0x00050631
	;; [unrolled: 1-line block ×19, first 2 shown]
.long 0xBF8CC07F
.long 0xBF8A0000
.long 0xD3CD8000, 0x0402191A
.long 0xD9FE0000, 0x10000020
	;; [unrolled: 1-line block ×5, first 2 shown]
.long 0xBF8C4F7A
.long 0x7E98ACF9, 0x00040638
.long 0x7E0014F9, 0x0006144C
	;; [unrolled: 1-line block ×17, first 2 shown]
.long 0x808A810A
.long 0xBF00820A
	;; [unrolled: 1-line block ×4, first 2 shown]
.long 0xD3CD8000, 0x04020110
.long 0xBF063A0A
.long 0x8552403D
.long 0xD9FE0040, 0x18000020
.long 0x8553803E
.long 0x80345234
	;; [unrolled: 3-line block ×4, first 2 shown]
.long 0x8536C138
.long 0xE05C1000, 0x800D4823
.long 0xD3CD8008, 0x04220114
.long 0xBF063A0A
.long 0x85523F3B
	;; [unrolled: 1-line block ×9, first 2 shown]
.long 0xE0901000, 0x800C3822
.long 0xD3CD800C, 0x04320514
.long 0xBF8C4F7B
.long 0x7E98ACF9, 0x0004063C
.long 0x7E0814F9, 0x0006144C
	;; [unrolled: 1-line block ×15, first 2 shown]
.long 0xBF8C4F79
.long 0x7E98ACF9, 0x00040640
.long 0x7E1014F9, 0x0006144C
	;; [unrolled: 1-line block ×15, first 2 shown]
.long 0xBF8C4F77
.long 0x7E98ACF9, 0x00040644
.long 0x7E1814F9, 0x0006144C
	;; [unrolled: 1-line block ×5, first 2 shown]
.long 0xBF8C4F77
.long 0xD9BE0000, 0x00003421
.long 0xD3CD800C, 0x04320D16
	;; [unrolled: 1-line block ×4, first 2 shown]
.long 0xBF8CC17F
.long 0xD3CD8000, 0x04021118
.long 0x7E98ACF9, 0x00050645
	;; [unrolled: 1-line block ×19, first 2 shown]
.long 0xBF8CC07F
.long 0xBF8A0000
.long 0xD3CD8000, 0x0402191A
.long 0xD9FE0000, 0x10000020
	;; [unrolled: 1-line block ×5, first 2 shown]
.long 0xBF8C4F7A
.long 0x7E98ACF9, 0x00040624
.long 0x7E0014F9, 0x0006144C
	;; [unrolled: 1-line block ×17, first 2 shown]
.long 0x808A810A
.long 0xBF00820A
	;; [unrolled: 1-line block ×4, first 2 shown]
.long 0xD3CD8000, 0x04020110
.long 0xD9FE0040, 0x18000020
.long 0xD9FE0A40, 0x1C000020
.long 0xD3CD8004, 0x04120510
.long 0xBF063A0A
.long 0x8552403D
	;; [unrolled: 1-line block ×9, first 2 shown]
.long 0xD3CD8008, 0x04220114
.long 0xD3CD800C, 0x04320514
.long 0xBF8C4F79
.long 0x7E98ACF9, 0x00040628
.long 0x7E0814F9, 0x0006144C
	;; [unrolled: 1-line block ×12, first 2 shown]
.long 0xBF800000
.long 0xD3CD8000, 0x04020912
.long 0xBF8C4F75
.long 0x7E98ACF9, 0x0004062C
.long 0x7E1014F9, 0x0006144C
	;; [unrolled: 1-line block ×13, first 2 shown]
.long 0xBF8C4F71
.long 0x7E98ACF9, 0x00040630
.long 0x7E1814F9, 0x0006144C
	;; [unrolled: 1-line block ×12, first 2 shown]
.long 0xBF8C4F70
.long 0xD9BE0000, 0x00004821
.long 0xD3CD8008, 0x04220916
.long 0xBF063A0A
.long 0x85523F3B
	;; [unrolled: 1-line block ×3, first 2 shown]
.long 0xD3CD800C, 0x04320D16
.long 0x80305230
.long 0x82315331
	;; [unrolled: 1-line block ×4, first 2 shown]
.long 0xD3CD8000, 0x04021118
.long 0x82975317
.long 0xBF068017
	;; [unrolled: 1-line block ×3, first 2 shown]
.long 0xD3CD8004, 0x04121518
.long 0xD3CD8008, 0x0422111C
	;; [unrolled: 1-line block ×5, first 2 shown]
.long 0xBF8CC07F
.long 0xBF8A0000
.long 0xD3CD8000, 0x0402191A
.long 0xD9FE0000, 0x10000020
	;; [unrolled: 1-line block ×4, first 2 shown]
.long 0xBF8C0F7C
.long 0x7E98ACF9, 0x00040638
.long 0x7E0014F9, 0x0006144C
	;; [unrolled: 1-line block ×14, first 2 shown]
.long 0xBF8CC07F
.long 0xD3CD8000, 0x04020110
.long 0xD9FE0040, 0x18000020
	;; [unrolled: 1-line block ×4, first 2 shown]
.long 0xBF8C0F78
.long 0x7E98ACF9, 0x0004063C
.long 0x7E0814F9, 0x0006144C
	;; [unrolled: 1-line block ×14, first 2 shown]
.long 0xBF8C0F74
.long 0x7E98ACF9, 0x00040640
.long 0x7E1014F9, 0x0006144C
	;; [unrolled: 1-line block ×16, first 2 shown]
.long 0xBF8C0F70
.long 0x7E98ACF9, 0x00040644
.long 0x7E1814F9, 0x0006144C
	;; [unrolled: 1-line block ×3, first 2 shown]
.long 0xBF8CC17F
.long 0xD3CD8000, 0x04021118
.long 0x7E98ACF9, 0x00050645
	;; [unrolled: 1-line block ×13, first 2 shown]
.long 0xBF8CC07F
.long 0xD3CD8000, 0x0402191A
.long 0xD3CD8004, 0x04121D1A
	;; [unrolled: 1-line block ×4, first 2 shown]
.long 0xBF82011C
.long 0xBF8CC07F
.long 0xD3CD8000, 0x04020110
.long 0xD9FE0040, 0x18000020
	;; [unrolled: 1-line block ×4, first 2 shown]
.long 0xBF063A0A
.long 0x8552403D
	;; [unrolled: 1-line block ×9, first 2 shown]
.long 0xD3CD8008, 0x04220114
.long 0xD3CD800C, 0x04320514
.long 0xBF8C4F79
.long 0x7E98ACF9, 0x0004063C
.long 0x7E0814F9, 0x0006144C
	;; [unrolled: 1-line block ×12, first 2 shown]
.long 0xBF800000
.long 0xD3CD8000, 0x04020912
.long 0xBF8C4F75
.long 0x7E98ACF9, 0x00040640
.long 0x7E1014F9, 0x0006144C
	;; [unrolled: 1-line block ×13, first 2 shown]
.long 0xBF8C4F71
.long 0x7E98ACF9, 0x00040644
.long 0x7E1814F9, 0x0006144C
	;; [unrolled: 1-line block ×12, first 2 shown]
.long 0xBF8C4F70
.long 0xD9BE0000, 0x00003421
.long 0xD3CD8008, 0x04220916
.long 0xBF063A0A
.long 0x85523F3B
	;; [unrolled: 1-line block ×3, first 2 shown]
.long 0xD3CD800C, 0x04320D16
.long 0x80305230
.long 0x82315331
	;; [unrolled: 1-line block ×4, first 2 shown]
.long 0xD3CD8000, 0x04021118
.long 0x82975317
.long 0xBF068017
	;; [unrolled: 1-line block ×3, first 2 shown]
.long 0xD3CD8004, 0x04121518
.long 0xD3CD8008, 0x0422111C
	;; [unrolled: 1-line block ×5, first 2 shown]
.long 0xBF8CC07F
.long 0xBF8A0000
.long 0xD3CD8000, 0x0402191A
.long 0xD9FE0000, 0x10000020
	;; [unrolled: 1-line block ×4, first 2 shown]
.long 0xBF8C0F7C
.long 0x7E98ACF9, 0x00040624
.long 0x7E0014F9, 0x0006144C
	;; [unrolled: 1-line block ×14, first 2 shown]
.long 0xBF8CC07F
.long 0xD3CD8000, 0x04020110
.long 0xD9FE0040, 0x18000020
	;; [unrolled: 1-line block ×4, first 2 shown]
.long 0xBF8C0F78
.long 0x7E98ACF9, 0x00040628
.long 0x7E0814F9, 0x0006144C
	;; [unrolled: 1-line block ×14, first 2 shown]
.long 0xBF8C0F74
.long 0x7E98ACF9, 0x0004062C
.long 0x7E1014F9, 0x0006144C
	;; [unrolled: 1-line block ×16, first 2 shown]
.long 0xBF8C0F70
.long 0x7E98ACF9, 0x00040630
.long 0x7E1814F9, 0x0006144C
	;; [unrolled: 1-line block ×3, first 2 shown]
.long 0xBF8CC17F
.long 0xD3CD8000, 0x04021118
.long 0x7E98ACF9, 0x00050631
	;; [unrolled: 1-line block ×13, first 2 shown]
.long 0xBF8CC07F
.long 0xD3CD8000, 0x0402191A
.long 0xD3CD8004, 0x04121D1A
	;; [unrolled: 1-line block ×5, first 2 shown]
.long 0x860A1BBF
.long 0xBF070706
	;; [unrolled: 1-line block ×37, first 2 shown]
.long 0xD2850001, 0x00020284
.long 0xD2850001, 0x00020228
.long 0x68000101
.long 0x20029C86
	;; [unrolled: 1-line block ×21, first 2 shown]
.long 0xE0801000, 0x800C2422
.long 0xE0841001, 0x800C0022
.long 0xBF8C0F70
.long 0x20000088
.long 0x28480124
.long 0xE0801000, 0x430C2522
.long 0xE0841001, 0x430C0022
.long 0xBF8C0F70
.long 0x20000088
.long 0x284A0125
.long 0x244A4A90
.long 0xE0801000, 0x440C2622
.long 0xE0841001, 0x440C0022
.long 0xBF8C0F70
.long 0x20000088
.long 0x284C0126
.long 0xE0801000, 0x450C2722
.long 0xE0841001, 0x450C0022
.long 0xBF8C0F70
.long 0x20000088
.long 0x284E0127
.long 0x244E4E90
	;; [unrolled: 11-line block ×8, first 2 shown]
.long 0xE0901000, 0x800D3423
.long 0xE0941002, 0x800D0023
.long 0xBF8C0F70
.long 0x28680134
.long 0xE0901004, 0x800D3523
.long 0xE0941006, 0x800D0023
.long 0xBF8C0F70
.long 0x286A0135
.long 0xE0901008, 0x800D3623
.long 0xE094100A, 0x800D0023
.long 0xBF8C0F70
.long 0x286C0136
.long 0xE090100C, 0x800D3723
.long 0xE094100E, 0x800D0023
.long 0xBF8C0F70
.long 0x286E0137
.long 0xBF8C0F70
.long 0xBF8A0000
.long 0xD9BE0000, 0x00003421
.long 0x26029CBF
.long 0x2600028F
	;; [unrolled: 1-line block ×27, first 2 shown]
.long 0xBE8500FF, 0x00000080
.long 0xD2850002, 0x00020405
.long 0x20009C88
.long 0xBE8500A0
.long 0xD2850000, 0x00020005
.long 0xD1FE0020, 0x02060300
.long 0x20044087
.long 0x24040485
	;; [unrolled: 1-line block ×5, first 2 shown]
.long 0x264040FF, 0x00001FFF
.long 0x7E98ACF9, 0x00040624
	;; [unrolled: 1-line block ×13, first 2 shown]
.long 0x7E480328
.long 0x7E4A0329
	;; [unrolled: 1-line block ×12, first 2 shown]
.long 0xD8EC0000, 0x10000020
.long 0xD8EC0A00, 0x12000020
.long 0xBE8500A0
.long 0x32404005
	;; [unrolled: 1-line block ×6, first 2 shown]
.long 0xD0C60052, 0x00001504
.long 0xD1000000, 0x01490100
.long 0xD1000002, 0x01490102
.long 0xD1000001, 0x01490101
.long 0xD1000003, 0x01490103
.long 0xD1000010, 0x01490110
.long 0xD1000012, 0x01490112
.long 0xD1000011, 0x01490111
.long 0xD1000013, 0x01490113
.long 0x6A08080A
.long 0xD0C10052, 0x00010904
.long 0x8654830A
.long 0x80D45484
	;; [unrolled: 1-line block ×3, first 2 shown]
.long 0xD28F004C, 0x00020054
.long 0xD1000000, 0x014A9900
.long 0xD1000001, 0x014A9B01
.long 0xD28F004C, 0x00020454
.long 0xD1000002, 0x014A9902
.long 0xD1000003, 0x014A9B03
.long 0xD28F004C, 0x00022054
.long 0xD1000010, 0x014A9910
.long 0xD1000011, 0x014A9B11
.long 0xD28F004C, 0x00022454
.long 0xD1000012, 0x014A9912
.long 0xD1000013, 0x014A9B13
.long 0xBF800001
.long 0xD3CD8000, 0x04020110
.long 0xD3CD8004, 0x04120510
	;; [unrolled: 1-line block ×4, first 2 shown]
.long 0x818A900A
.long 0x800B900B
	;; [unrolled: 1-line block ×6, first 2 shown]
.long 0xC00E0C00, 0x0000005C
.long 0xC00A0E00, 0x0000007C
	;; [unrolled: 1-line block ×3, first 2 shown]
.long 0x20089C86
.long 0x200A0882
.long 0xD2850005, 0x00020A90
.long 0x26029CBF
.long 0x20020284
	;; [unrolled: 1-line block ×3, first 2 shown]
.long 0xD1FE0001, 0x02020305
.long 0xD2850002, 0x00004D01
	;; [unrolled: 1-line block ×3, first 2 shown]
.long 0x26000883
.long 0xD2850000, 0x00020090
.long 0x260A9C8F
.long 0xD1FE0000, 0x02060105
.long 0x920502FF, 0x00000080
.long 0x68000005
.long 0x920503A0
	;; [unrolled: 1-line block ×6, first 2 shown]
.long 0x864818FF, 0x0000007F
.long 0x804914C1
.long 0xBF094902
	;; [unrolled: 1-line block ×11, first 2 shown]
.long 0xD1FE0006, 0x020A0103
.long 0xD3D84008, 0x18000100
	;; [unrolled: 1-line block ×17, first 2 shown]
.long 0xBF800001
.long 0xE0741000, 0x80030806
.long 0x8E3E8224
.long 0x800C3E0C
.long 0x820D800D
.long 0xE0741000, 0x80030A06
.long 0x8E3E8224
.long 0x800C3E0C
.long 0x820D800D
.long 0xE0741000, 0x80030C06
.long 0x8E3E8224
.long 0x800C3E0C
.long 0x820D800D
.long 0xE0741000, 0x80030E06
.long 0x923EB424
.long 0x800C3E0C
.long 0x820D800D
.long 0xE0741000, 0x80031006
.long 0x8E3E8224
.long 0x800C3E0C
.long 0x820D800D
.long 0xE0741000, 0x80031206
.long 0x8E3E8224
.long 0x800C3E0C
.long 0x820D800D
.long 0xE0741000, 0x80031406
.long 0x8E3E8224
.long 0x800C3E0C
.long 0x820D800D
.long 0xE0741000, 0x80031606
.long 0xBF800000
.long 0xBF8200A9
.long 0x7E3C02FF, 0x80000000
.long 0xD0C90048, 0x00003100
.long 0xD0C9004C, 0x00003301
.long 0x86CC4C48
.long 0xD1FE0006, 0x020A0103
.long 0xD1000006, 0x01320D1E
.long 0xD1196A01, 0x00010301
.long 0xD1340002, 0x00004D02
.long 0xD1340003, 0x00004903
.long 0xD0C90048, 0x00003100
.long 0xD0C9004C, 0x00003301
.long 0x86CC4C48
.long 0xD1FE0007, 0x020A0103
.long 0xD1000007, 0x01320F1E
.long 0xD1196A01, 0x00010301
.long 0xD1340002, 0x00004D02
	;; [unrolled: 8-line block ×3, first 2 shown]
.long 0xD1340003, 0x00004903
.long 0xD0C90048, 0x00003100
	;; [unrolled: 1-line block ×3, first 2 shown]
.long 0x86CC4C48
.long 0xD1FE000D, 0x020A0103
.long 0xD100000D, 0x01321B1E
	;; [unrolled: 1-line block ×3, first 2 shown]
.long 0x92488D26
.long 0xD1340002, 0x00009102
.long 0x92488D24
.long 0xD1340003, 0x00009103
.long 0xD0C90048, 0x00003100
.long 0xD0C9004C, 0x00003301
.long 0x86CC4C48
.long 0xD1FE0012, 0x020A0103
.long 0xD1000012, 0x0132251E
.long 0xD1196A01, 0x00010301
.long 0xD1340002, 0x00004D02
.long 0xD1340003, 0x00004903
.long 0xD0C90048, 0x00003100
.long 0xD0C9004C, 0x00003301
.long 0x86CC4C48
.long 0xD1FE0013, 0x020A0103
.long 0xD1000013, 0x0132271E
.long 0xD1196A01, 0x00010301
.long 0xD1340002, 0x00004D02
	;; [unrolled: 8-line block ×4, first 2 shown]
.long 0xD3D8400A, 0x18000101
.long 0xD3D8400B, 0x18000105
	;; [unrolled: 1-line block ×14, first 2 shown]
.long 0xBF800001
.long 0xE0741000, 0x80030806
.long 0xE0741000, 0x80030A07
	;; [unrolled: 1-line block ×8, first 2 shown]
.long 0xBF800000
.long 0xBF820000
	;; [unrolled: 1-line block ×3, first 2 shown]
.long 0x814A84FF, 0x00001B14
.long 0x80484A48
.long 0x82498049
	;; [unrolled: 1-line block ×6, first 2 shown]
.long 0xC0020158, 0x00000000
.long 0xBEAF00F2
.long 0xBF128032
	;; [unrolled: 1-line block ×3, first 2 shown]
.long 0xC0020BD9, 0x00000000
.long 0xBEC00034
.long 0xBEC10035
.long 0xBEC300FF, 0x00020000
.long 0xBF128034
.long 0xBF840002
	;; [unrolled: 1-line block ×12, first 2 shown]
.long 0xBEC700FF, 0x00020000
.long 0xBF128036
.long 0xBF840002
	;; [unrolled: 1-line block ×8, first 2 shown]
.long 0x923D02FF, 0x00000080
.long 0x68109C3D
.long 0x923D0439
	;; [unrolled: 1-line block ×4, first 2 shown]
.long 0xE0501000, 0x80110408
.long 0x24109C82
.long 0xBF8C0F70
.long 0xBF8A0000
.long 0xD81A0000, 0x00000408
.long 0xBF820012
.long 0xB4B80004
.long 0xBF850010
.long 0x92464682
.long 0x923D02FF, 0x00000080
.long 0x68109C3D
	;; [unrolled: 5-line block ×4, first 2 shown]
.long 0x7E08022C
.long 0xBF8CC07F
.long 0xD1050004, 0x00000B04
.long 0xD1050004, 0x00005F04
.long 0xBF800000
.long 0x7E580504
	;; [unrolled: 1-line block ×19, first 2 shown]
.long 0x810584FF, 0x00001770
.long 0x803E053E
.long 0x823F803F
.long 0xBF820030
.long 0xBEBE1C00
.long 0x810584FF, 0x0000175C
.long 0x803E053E
.long 0x823F803F
.long 0xBF82002A
.long 0xBEBE1C00
	;; [unrolled: 5-line block ×9, first 2 shown]
.long 0xBF840284
.long 0x864A18FF, 0x0000007F
.long 0x804B14C1
.long 0xBF094B02
.long 0x854A804A
.long 0xB54A0000
.long 0xBF8500F5
.long 0x864A199F
.long 0x804B15C1
.long 0xBF094B03
.long 0x854A804A
.long 0xB54A0000
.long 0xBF8500EF
.long 0x924A02FF, 0x00000080
.long 0xD1350009, 0x00009500
.long 0x24121282
.long 0xBF8CC07F
	;; [unrolled: 1-line block ×3, first 2 shown]
.long 0xD8EC0000, 0x0C000009
.long 0x24140082
.long 0xE0541000, 0x80100E0A
.long 0xD1FE0007, 0x02060103
	;; [unrolled: 1-line block ×18, first 2 shown]
.long 0xBF800001
.long 0x0A20202C
.long 0x0A22222C
.long 0x0A24242C
.long 0x0A26262C
.long 0x0A28282C
.long 0x0A2A2A2C
.long 0x0A2C2C2C
.long 0x0A2E2E2C
.long 0x0A30302C
.long 0x0A32322C
.long 0x0A34342C
.long 0x0A36362C
.long 0x0A38382C
.long 0x0A3A3A2C
.long 0x0A3C3C2C
.long 0x0A3E3E2C
.long 0xBF8C0000
.long 0xD0CC0034, 0x00010042
.long 0xD100000E, 0x00D21CF2
	;; [unrolled: 1-line block ×5, first 2 shown]
.long 0xBEC81E3E
.long 0x7E200304
	;; [unrolled: 1-line block ×5, first 2 shown]
.long 0xD2A00010, 0x00022310
.long 0xE0701000, 0x80031007
	;; [unrolled: 1-line block ×7, first 2 shown]
.long 0xBEC81E3E
.long 0x7E240304
.long 0x7E260305
.long 0x7E241512
.long 0x7E261513
.long 0xD2A00012, 0x00022712
.long 0x8E4A8124
.long 0x800C4A0C
.long 0x820D800D
.long 0xE0701000, 0x80031207
.long 0xD0CC0034, 0x00010042
.long 0xD100000E, 0x00D21CF2
.long 0xD100000F, 0x00D21EF2
.long 0xD3B14014, 0x1802290E
.long 0xD3B24004, 0x1802290C
.long 0xBEC81E3E
.long 0x7E280304
.long 0x7E2A0305
.long 0x7E281514
.long 0x7E2A1515
.long 0xD2A00014, 0x00022B14
.long 0x8E4A8124
.long 0x800C4A0C
.long 0x820D800D
.long 0xE0701000, 0x80031407
.long 0xD0CC0034, 0x00010042
.long 0xD100000E, 0x00D21CF2
.long 0xD100000F, 0x00D21EF2
.long 0xD3B14016, 0x18022D0E
.long 0xD3B24004, 0x18022D0C
	;; [unrolled: 15-line block ×6, first 2 shown]
.long 0xBEC81E3E
.long 0x7E3C0304
	;; [unrolled: 1-line block ×5, first 2 shown]
.long 0xD2A0001E, 0x00023F1E
.long 0x8E4A8124
.long 0x800C4A0C
.long 0x820D800D
.long 0xE0701000, 0x80031E07
.long 0xBF800000
.long 0xBF820531
.long 0x7E6202FF, 0x80000000
.long 0xD0C9004A, 0x00003100
	;; [unrolled: 1-line block ×3, first 2 shown]
.long 0x86CE4E4A
.long 0x924A02FF, 0x00000080
.long 0xD1350008, 0x00009500
.long 0x24101082
.long 0xD1000008, 0x013A1131
.long 0xBF8CC07F
.long 0xBF8A0000
.long 0xD8EC0000, 0x0A000008
.long 0x24120082
.long 0xE0541000, 0x80100C09
.long 0xD1FE0007, 0x02060103
	;; [unrolled: 1-line block ×8, first 2 shown]
.long 0x86CE4E4A
.long 0x924A02FF, 0x00000080
.long 0xD1350011, 0x00009500
.long 0x24222282
.long 0xD1000011, 0x013A2331
.long 0x24240082
.long 0xD1FE0010, 0x02060103
.long 0xD1000010, 0x013A2131
	;; [unrolled: 1-line block ×7, first 2 shown]
.long 0x86CE4E4A
.long 0x924A02FF, 0x00000080
.long 0xD1350016, 0x00009500
.long 0x242C2C82
.long 0xD1000016, 0x013A2D31
.long 0x242E0082
.long 0xD1FE0013, 0x02060103
.long 0xD1000013, 0x013A2731
	;; [unrolled: 1-line block ×7, first 2 shown]
.long 0x86CE4E4A
.long 0x924A02FF, 0x00000080
.long 0xD135001B, 0x00009500
.long 0x24363682
.long 0xD100001B, 0x013A3731
.long 0x24380082
.long 0xD1FE001A, 0x02060103
.long 0xD100001A, 0x013A3531
	;; [unrolled: 1-line block ×3, first 2 shown]
.long 0x924A8D26
.long 0xD1340002, 0x00009502
.long 0x924A8D24
.long 0xD1340003, 0x00009503
.long 0xD0C9004A, 0x00003100
.long 0xD0C9004E, 0x00003301
.long 0x86CE4E4A
.long 0x924A02FF, 0x00000080
.long 0xD1350020, 0x00009500
.long 0x24404082
.long 0xD1000020, 0x013A4131
.long 0x24420082
.long 0xD1FE001D, 0x02060103
.long 0xD100001D, 0x013A3B31
.long 0xD1196A01, 0x00010301
.long 0xD1340002, 0x00004D02
.long 0xD1340003, 0x00004903
.long 0xD0C9004A, 0x00003100
.long 0xD0C9004E, 0x00003301
.long 0x86CE4E4A
.long 0x924A02FF, 0x00000080
.long 0xD1350025, 0x00009500
.long 0x244A4A82
.long 0xD1000025, 0x013A4B31
.long 0x244C0082
.long 0xD1FE0024, 0x02060103
.long 0xD1000024, 0x013A4931
.long 0xD1196A01, 0x00010301
.long 0xD1340002, 0x00004D02
	;; [unrolled: 13-line block ×4, first 2 shown]
.long 0xD3D84014, 0x18000101
.long 0xD3D84015, 0x18000105
.long 0xD3D84018, 0x18000102
.long 0xD3D84019, 0x18000106
.long 0xD3D8401E, 0x18000103
.long 0xD3D8401F, 0x18000107
.long 0xD3D84022, 0x18000108
.long 0xD3D84023, 0x1800010C
.long 0xD3D84028, 0x18000109
.long 0xD3D84029, 0x1800010D
.long 0xD3D8402C, 0x1800010A
.long 0xD3D8402D, 0x1800010E
.long 0xD3D84032, 0x1800010B
.long 0xD3D84033, 0x1800010F
.long 0xBF800001
.long 0x0A1C1C2C
	;; [unrolled: 1-line block ×18, first 2 shown]
.long 0xD0CC0034, 0x00010042
.long 0xD100000C, 0x00D218F2
.long 0xD100000D, 0x00D21AF2
.long 0xD3B1400E, 0x18021D0C
.long 0xD3B24004, 0x18021D0A
.long 0xBEC81E3E
.long 0x7E1C0304
.long 0x7E1E0305
.long 0x7E1C150E
.long 0x7E1E150F
.long 0xD2A0000E, 0x00021F0E
.long 0xE0701000, 0x80030E07
.long 0xD0CC0034, 0x00010042
.long 0xD100000C, 0x00D218F2
.long 0xD100000D, 0x00D21AF2
.long 0xD3B14014, 0x1802290C
.long 0xD3B24004, 0x1802290A
.long 0xBEC81E3E
.long 0x7E280304
.long 0x7E2A0305
.long 0x7E281514
.long 0x7E2A1515
.long 0xD2A00014, 0x00022B14
.long 0xE0701000, 0x80031410
	;; [unrolled: 12-line block ×8, first 2 shown]
.long 0xBF800000
.long 0xBF8203A9
.long 0x864A18FF, 0x0000007F
.long 0x804B14C1
.long 0xBF094B02
	;; [unrolled: 1-line block ×11, first 2 shown]
.long 0xD1FE0008, 0x02060102
.long 0xE0501000, 0x80040B08
	;; [unrolled: 1-line block ×4, first 2 shown]
.long 0x24121282
.long 0xBF8CC07F
	;; [unrolled: 1-line block ×3, first 2 shown]
.long 0xD8EC0000, 0x0C000009
.long 0x24140082
.long 0xE0541000, 0x80100E0A
.long 0x8E4A8126
.long 0x80104A10
.long 0x82118011
.long 0xE0501000, 0x80041208
.long 0x8E4A8126
.long 0x80104A10
	;; [unrolled: 4-line block ×7, first 2 shown]
.long 0x82118011
.long 0xE0501000, 0x80042408
.long 0xD1FE0007, 0x02060103
	;; [unrolled: 1-line block ×18, first 2 shown]
.long 0xBF800001
.long 0x0A20202C
	;; [unrolled: 1-line block ×18, first 2 shown]
.long 0xD0CC0034, 0x00010042
.long 0xD100000E, 0x00D21CF2
	;; [unrolled: 1-line block ×7, first 2 shown]
.long 0xBEC81E3E
.long 0x7E200304
	;; [unrolled: 1-line block ×5, first 2 shown]
.long 0xD2A00010, 0x00022310
.long 0xE0701000, 0x80031007
.long 0xBF8C0F77
.long 0xD0CC0034, 0x00010042
.long 0xD100000E, 0x00D21CF2
.long 0xD100000F, 0x00D21EF2
.long 0xD3B14014, 0x1802290E
.long 0xD3A00014, 0x1452242D
.long 0xD3A01015, 0x1456242D
.long 0xD3B24004, 0x1802290C
.long 0xBEC81E3E
.long 0x7E280304
.long 0x7E2A0305
.long 0x7E281514
.long 0x7E2A1515
.long 0xD2A00014, 0x00022B14
.long 0x8E4A8124
.long 0x800C4A0C
.long 0x820D800D
.long 0xE0701000, 0x80031407
.long 0xBF8C0F77
.long 0xD0CC0034, 0x00010042
.long 0xD100000E, 0x00D21CF2
.long 0xD100000F, 0x00D21EF2
.long 0xD3B14016, 0x18022D0E
.long 0xD3A00016, 0x145A262D
.long 0xD3A01017, 0x145E262D
.long 0xD3B24004, 0x18022D0C
.long 0xBEC81E3E
.long 0x7E2C0304
.long 0x7E2E0305
.long 0x7E2C1516
.long 0x7E2E1517
.long 0xD2A00016, 0x00022F16
.long 0x8E4A8124
.long 0x800C4A0C
.long 0x820D800D
.long 0xE0701000, 0x80031607
.long 0xBF8C0F77
.long 0xD0CC0034, 0x00010042
.long 0xD100000E, 0x00D21CF2
.long 0xD100000F, 0x00D21EF2
.long 0xD3B1401A, 0x1802350E
.long 0xD3A0001A, 0x146A302D
.long 0xD3A0101B, 0x146E302D
.long 0xD3B24004, 0x1802350C
.long 0xBEC81E3E
.long 0x7E340304
.long 0x7E360305
.long 0x7E34151A
.long 0x7E36151B
.long 0xD2A0001A, 0x0002371A
.long 0x8E4A8124
.long 0x800C4A0C
.long 0x820D800D
.long 0xE0701000, 0x80031A07
.long 0xBF8C0F77
.long 0xD0CC0034, 0x00010042
.long 0xD100000E, 0x00D21CF2
.long 0xD100000F, 0x00D21EF2
.long 0xD3B1401C, 0x1802390E
.long 0xD3A0001C, 0x1472322D
.long 0xD3A0101D, 0x1476322D
.long 0xD3B24004, 0x1802390C
.long 0xBEC81E3E
.long 0x7E380304
.long 0x7E3A0305
.long 0x7E38151C
.long 0x7E3A151D
.long 0xD2A0001C, 0x00023B1C
.long 0x924A9A24
.long 0x800C4A0C
.long 0x820D800D
.long 0xE0701000, 0x80031C07
.long 0xBF8C0F77
.long 0xD0CC0034, 0x00010042
.long 0xD100000E, 0x00D21CF2
.long 0xD100000F, 0x00D21EF2
.long 0xD3B14020, 0x1802410E
.long 0xD3A00020, 0x14823C2D
.long 0xD3A01021, 0x14863C2D
.long 0xD3B24004, 0x1802410C
.long 0xBEC81E3E
.long 0x7E400304
.long 0x7E420305
.long 0x7E401520
.long 0x7E421521
.long 0xD2A00020, 0x00024320
.long 0x8E4A8124
.long 0x800C4A0C
.long 0x820D800D
.long 0xE0701000, 0x80032007
.long 0xBF8C0F77
.long 0xD0CC0034, 0x00010042
.long 0xD100000E, 0x00D21CF2
.long 0xD100000F, 0x00D21EF2
.long 0xD3B14022, 0x1802450E
.long 0xD3A00022, 0x148A3E2D
.long 0xD3A01023, 0x148E3E2D
.long 0xD3B24004, 0x1802450C
.long 0xBEC81E3E
.long 0x7E440304
.long 0x7E460305
.long 0x7E441522
.long 0x7E461523
.long 0xD2A00022, 0x00024722
.long 0x8E4A8124
.long 0x800C4A0C
.long 0x820D800D
.long 0xE0701000, 0x80032207
.long 0xBF8C0F77
.long 0xD0CC0034, 0x00010042
.long 0xD100000E, 0x00D21CF2
.long 0xD100000F, 0x00D21EF2
.long 0xD3B14026, 0x18024D0E
.long 0xD3A00026, 0x149A482D
.long 0xD3A01027, 0x149E482D
.long 0xD3B24004, 0x18024D0C
.long 0xBEC81E3E
.long 0x7E4C0304
.long 0x7E4E0305
.long 0x7E4C1526
.long 0x7E4E1527
.long 0xD2A00026, 0x00024F26
.long 0x8E4A8124
.long 0x800C4A0C
.long 0x820D800D
.long 0xE0701000, 0x80032607
.long 0xBF800000
.long 0xBF82025F
.long 0x7E7202FF, 0x80000000
.long 0xD0C9004A, 0x00003100
	;; [unrolled: 1-line block ×3, first 2 shown]
.long 0x86CE4E4A
.long 0xD1FE0007, 0x02060102
.long 0xD1000007, 0x013A0F39
	;; [unrolled: 1-line block ×5, first 2 shown]
.long 0x24101082
.long 0xD1000008, 0x013A1139
.long 0xBF8CC07F
.long 0xBF8A0000
.long 0xD8EC0000, 0x0C000008
.long 0x24120082
.long 0xE0541000, 0x80100E09
.long 0xD1FE0007, 0x02060103
	;; [unrolled: 1-line block ×8, first 2 shown]
.long 0x86CE4E4A
.long 0xD1FE000B, 0x02060102
.long 0xD100000B, 0x013A1739
	;; [unrolled: 1-line block ×5, first 2 shown]
.long 0x24242482
.long 0xD1000012, 0x013A2539
.long 0x24260082
.long 0xD1FE000B, 0x02060103
.long 0xD100000B, 0x013A1739
	;; [unrolled: 1-line block ×7, first 2 shown]
.long 0x86CE4E4A
.long 0xD1FE0015, 0x02060102
.long 0xD1000015, 0x013A2B39
	;; [unrolled: 1-line block ×5, first 2 shown]
.long 0x24303082
.long 0xD1000018, 0x013A3139
.long 0x24320082
.long 0xD1FE0015, 0x02060103
.long 0xD1000015, 0x013A2B39
	;; [unrolled: 1-line block ×7, first 2 shown]
.long 0x86CE4E4A
.long 0xD1FE001B, 0x02060102
.long 0xD100001B, 0x013A3739
	;; [unrolled: 1-line block ×5, first 2 shown]
.long 0x243C3C82
.long 0xD100001E, 0x013A3D39
.long 0x243E0082
.long 0xD1FE001B, 0x02060103
.long 0xD100001B, 0x013A3739
	;; [unrolled: 1-line block ×3, first 2 shown]
.long 0x924A8D26
.long 0xD1340002, 0x00009502
.long 0x924A8D24
.long 0xD1340003, 0x00009503
.long 0xD0C9004A, 0x00003100
.long 0xD0C9004E, 0x00003301
.long 0x86CE4E4A
.long 0xD1FE0021, 0x02060102
.long 0xD1000021, 0x013A4339
.long 0xE0501000, 0x80042621
.long 0x924A02FF, 0x00000080
.long 0xD1350024, 0x00009500
.long 0x24484882
.long 0xD1000024, 0x013A4939
.long 0x244A0082
.long 0xD1FE0021, 0x02060103
.long 0xD1000021, 0x013A4339
.long 0xD1196A01, 0x00010301
.long 0xD1340002, 0x00004D02
.long 0xD1340003, 0x00004903
.long 0xD0C9004A, 0x00003100
.long 0xD0C9004E, 0x00003301
.long 0x86CE4E4A
.long 0xD1FE0027, 0x02060102
.long 0xD1000027, 0x013A4F39
.long 0xE0501000, 0x80042C27
.long 0x924A02FF, 0x00000080
.long 0xD135002A, 0x00009500
.long 0x24545482
.long 0xD100002A, 0x013A5539
.long 0x24560082
.long 0xD1FE0027, 0x02060103
.long 0xD1000027, 0x013A4F39
.long 0xD1196A01, 0x00010301
.long 0xD1340002, 0x00004D02
	;; [unrolled: 16-line block ×4, first 2 shown]
.long 0xD3D84016, 0x18000101
.long 0xD3D84017, 0x18000105
	;; [unrolled: 1-line block ×14, first 2 shown]
.long 0xBF800001
.long 0x0A20202C
	;; [unrolled: 1-line block ×18, first 2 shown]
.long 0xD0CC0034, 0x00010042
.long 0xD100000E, 0x00D21CF2
.long 0xD100000F, 0x00D21EF2
.long 0xD3B14010, 0x1802210E
.long 0xD3A00010, 0x1442142D
.long 0xD3A01011, 0x1446142D
.long 0xD3B24004, 0x1802210C
.long 0xBEC81E3E
.long 0x7E200304
.long 0x7E220305
.long 0x7E201510
.long 0x7E221511
.long 0xD2A00010, 0x00022310
.long 0xE0701000, 0x80031007
.long 0xD0CC0034, 0x00010042
.long 0xD100000E, 0x00D21CF2
.long 0xD100000F, 0x00D21EF2
.long 0xD3B14016, 0x18022D0E
.long 0xD3A00016, 0x145A282D
.long 0xD3A01017, 0x145E282D
.long 0xD3B24004, 0x18022D0C
.long 0xBEC81E3E
.long 0x7E2C0304
.long 0x7E2E0305
.long 0x7E2C1516
.long 0x7E2E1517
.long 0xD2A00016, 0x00022F16
.long 0xE0701000, 0x8003160B
	;; [unrolled: 14-line block ×8, first 2 shown]
.long 0xBF800000
.long 0xBF820087
.long 0xBE801D48
.long 0x260808FF, 0x7FFFFFFF
.long 0x260A0AFF, 0x7FFFFFFF
.long 0xBE801D48
.long 0xD044006A, 0x00007504
.long 0x1408083B
.long 0x00080880
.long 0xD044006A, 0x00007505
.long 0x140A0A3B
.long 0x000A0A80
	;; [unrolled: 1-line block ×3, first 2 shown]
.long 0x0A0C08FF, 0x3D372713
.long 0xD1CB0006, 0x03CA0D04
.long 0x0A0C0D04
.long 0x0A0C0CFF, 0x40135761
.long 0x7E0C4106
.long 0xBF800000
	;; [unrolled: 1-line block ×5, first 2 shown]
.long 0xD1CB0006, 0x03D20CF5
.long 0x0A0C0D04
.long 0x0A080CF0
.long 0x0A0C0AFF, 0x3D372713
.long 0xD1CB0006, 0x03CA0D05
.long 0x0A0C0D05
.long 0x0A0C0CFF, 0x40135761
.long 0x7E0C4106
.long 0xBF800000
	;; [unrolled: 1-line block ×5, first 2 shown]
.long 0xD1CB0006, 0x03D20CF5
.long 0x0A0C0D05
.long 0x0A0A0CF0
.long 0xBE801D48
.long 0x0A0C083A
.long 0xD046006A, 0x00010104
.long 0x00080906
.long 0x0A0C0A3A
.long 0xD046006A, 0x00010105
.long 0x000A0B06
.long 0xBE801D48
.long 0xD10B0004, 0x00010104
.long 0xD10B0005, 0x00010105
.long 0xBE801D48
.long 0x0A0808FF, 0xBFB8AA3B
.long 0x7E084104
.long 0xBF800000
	;; [unrolled: 1-line block ×5, first 2 shown]
.long 0x0A0A0AFF, 0xBFB8AA3B
.long 0x7E0A4105
.long 0xBF800000
	;; [unrolled: 1-line block ×7, first 2 shown]
.long 0x0A0808FF, 0x4038AA3B
.long 0x7E084104
.long 0xBF800000
	;; [unrolled: 1-line block ×5, first 2 shown]
.long 0xD1CB0004, 0x03CA08F5
.long 0x0A08083B
.long 0x0A0A0A3A
.long 0x0A0A0AFF, 0x4038AA3B
.long 0x7E0A4105
.long 0xBF800000
	;; [unrolled: 1-line block ×5, first 2 shown]
.long 0xD1CB0005, 0x03CA0AF5
.long 0x0A0A0A3B
.long 0xBE801D48
.long 0x0A0C08FF, 0x3D372713
.long 0xD1CB0006, 0x03CA0D04
.long 0x0A0C0D04
.long 0x0A0C0CFF, 0x40135761
.long 0x7E0C4106
.long 0xBF800000
	;; [unrolled: 1-line block ×5, first 2 shown]
.long 0xD1CB0006, 0x03D20CF5
.long 0x0A0C0D04
.long 0x0A0C0CF0
.long 0x0A080C3A
.long 0x0A0C0AFF, 0x3D372713
.long 0xD1CB0006, 0x03CA0D05
.long 0x0A0C0D05
.long 0x0A0C0CFF, 0x40135761
.long 0x7E0C4106
.long 0xBF800000
	;; [unrolled: 1-line block ×5, first 2 shown]
.long 0xD1CB0006, 0x03D20CF5
.long 0x0A0C0D05
.long 0x0A0C0CF0
	;; [unrolled: 1-line block ×5, first 2 shown]
